;; amdgpu-corpus repo=zjin-lcf/HeCBench kind=compiled arch=gfx906 opt=O3
	.amdgcn_target "amdgcn-amd-amdhsa--gfx906"
	.amdhsa_code_object_version 6
	.text
	.protected	_Z11sortElementP15HIP_vector_typeIfLj4EES1_i ; -- Begin function _Z11sortElementP15HIP_vector_typeIfLj4EES1_i
	.globl	_Z11sortElementP15HIP_vector_typeIfLj4EES1_i
	.p2align	8
	.type	_Z11sortElementP15HIP_vector_typeIfLj4EES1_i,@function
_Z11sortElementP15HIP_vector_typeIfLj4EES1_i: ; @_Z11sortElementP15HIP_vector_typeIfLj4EES1_i
; %bb.0:
	s_load_dword s0, s[4:5], 0x24
	s_load_dword s1, s[4:5], 0x10
	s_waitcnt lgkmcnt(0)
	s_and_b32 s0, s0, 0xffff
	s_mul_i32 s6, s6, s0
	v_add_u32_e32 v0, s6, v0
	v_cmp_gt_i32_e32 vcc, s1, v0
	s_and_saveexec_b64 s[0:1], vcc
	s_cbranch_execz .LBB0_2
; %bb.1:
	s_load_dwordx4 s[0:3], s[4:5], 0x0
	v_ashrrev_i32_e32 v1, 31, v0
	v_lshlrev_b64 v[4:5], 4, v[0:1]
	s_waitcnt lgkmcnt(0)
	v_mov_b32_e32 v1, s3
	v_add_co_u32_e32 v0, vcc, s2, v4
	v_addc_co_u32_e32 v1, vcc, v1, v5, vcc
	global_load_dwordx4 v[0:3], v[0:1], off
	v_mov_b32_e32 v6, s1
	s_waitcnt vmcnt(0)
	v_cmp_gt_f32_e32 vcc, v0, v1
	v_cndmask_b32_e32 v7, v0, v1, vcc
	v_cmp_gt_f32_e32 vcc, v1, v0
	v_cndmask_b32_e32 v1, v0, v1, vcc
	;; [unrolled: 2-line block ×10, first 2 shown]
	v_add_co_u32_e32 v4, vcc, s0, v4
	v_addc_co_u32_e32 v5, vcc, v6, v5, vcc
	global_store_dwordx4 v[4:5], v[0:3], off
.LBB0_2:
	s_endpgm
	.section	.rodata,"a",@progbits
	.p2align	6, 0x0
	.amdhsa_kernel _Z11sortElementP15HIP_vector_typeIfLj4EES1_i
		.amdhsa_group_segment_fixed_size 0
		.amdhsa_private_segment_fixed_size 0
		.amdhsa_kernarg_size 280
		.amdhsa_user_sgpr_count 6
		.amdhsa_user_sgpr_private_segment_buffer 1
		.amdhsa_user_sgpr_dispatch_ptr 0
		.amdhsa_user_sgpr_queue_ptr 0
		.amdhsa_user_sgpr_kernarg_segment_ptr 1
		.amdhsa_user_sgpr_dispatch_id 0
		.amdhsa_user_sgpr_flat_scratch_init 0
		.amdhsa_user_sgpr_private_segment_size 0
		.amdhsa_uses_dynamic_stack 0
		.amdhsa_system_sgpr_private_segment_wavefront_offset 0
		.amdhsa_system_sgpr_workgroup_id_x 1
		.amdhsa_system_sgpr_workgroup_id_y 0
		.amdhsa_system_sgpr_workgroup_id_z 0
		.amdhsa_system_sgpr_workgroup_info 0
		.amdhsa_system_vgpr_workitem_id 0
		.amdhsa_next_free_vgpr 10
		.amdhsa_next_free_sgpr 7
		.amdhsa_reserve_vcc 1
		.amdhsa_reserve_flat_scratch 0
		.amdhsa_float_round_mode_32 0
		.amdhsa_float_round_mode_16_64 0
		.amdhsa_float_denorm_mode_32 3
		.amdhsa_float_denorm_mode_16_64 3
		.amdhsa_dx10_clamp 1
		.amdhsa_ieee_mode 1
		.amdhsa_fp16_overflow 0
		.amdhsa_exception_fp_ieee_invalid_op 0
		.amdhsa_exception_fp_denorm_src 0
		.amdhsa_exception_fp_ieee_div_zero 0
		.amdhsa_exception_fp_ieee_overflow 0
		.amdhsa_exception_fp_ieee_underflow 0
		.amdhsa_exception_fp_ieee_inexact 0
		.amdhsa_exception_int_div_zero 0
	.end_amdhsa_kernel
	.text
.Lfunc_end0:
	.size	_Z11sortElementP15HIP_vector_typeIfLj4EES1_i, .Lfunc_end0-_Z11sortElementP15HIP_vector_typeIfLj4EES1_i
                                        ; -- End function
	.set _Z11sortElementP15HIP_vector_typeIfLj4EES1_i.num_vgpr, 10
	.set _Z11sortElementP15HIP_vector_typeIfLj4EES1_i.num_agpr, 0
	.set _Z11sortElementP15HIP_vector_typeIfLj4EES1_i.numbered_sgpr, 7
	.set _Z11sortElementP15HIP_vector_typeIfLj4EES1_i.num_named_barrier, 0
	.set _Z11sortElementP15HIP_vector_typeIfLj4EES1_i.private_seg_size, 0
	.set _Z11sortElementP15HIP_vector_typeIfLj4EES1_i.uses_vcc, 1
	.set _Z11sortElementP15HIP_vector_typeIfLj4EES1_i.uses_flat_scratch, 0
	.set _Z11sortElementP15HIP_vector_typeIfLj4EES1_i.has_dyn_sized_stack, 0
	.set _Z11sortElementP15HIP_vector_typeIfLj4EES1_i.has_recursion, 0
	.set _Z11sortElementP15HIP_vector_typeIfLj4EES1_i.has_indirect_call, 0
	.section	.AMDGPU.csdata,"",@progbits
; Kernel info:
; codeLenInByte = 200
; TotalNumSgprs: 11
; NumVgprs: 10
; ScratchSize: 0
; MemoryBound: 0
; FloatMode: 240
; IeeeMode: 1
; LDSByteSize: 0 bytes/workgroup (compile time only)
; SGPRBlocks: 1
; VGPRBlocks: 2
; NumSGPRsForWavesPerEU: 11
; NumVGPRsForWavesPerEU: 10
; Occupancy: 10
; WaveLimiterHint : 0
; COMPUTE_PGM_RSRC2:SCRATCH_EN: 0
; COMPUTE_PGM_RSRC2:USER_SGPR: 6
; COMPUTE_PGM_RSRC2:TRAP_HANDLER: 0
; COMPUTE_PGM_RSRC2:TGID_X_EN: 1
; COMPUTE_PGM_RSRC2:TGID_Y_EN: 0
; COMPUTE_PGM_RSRC2:TGID_Z_EN: 0
; COMPUTE_PGM_RSRC2:TIDIG_COMP_CNT: 0
	.text
	.protected	_Z13mergeSortPassPK15HIP_vector_typeIfLj4EEPS0_PKiiii ; -- Begin function _Z13mergeSortPassPK15HIP_vector_typeIfLj4EEPS0_PKiiii
	.globl	_Z13mergeSortPassPK15HIP_vector_typeIfLj4EEPS0_PKiiii
	.p2align	8
	.type	_Z13mergeSortPassPK15HIP_vector_typeIfLj4EEPS0_PKiiii,@function
_Z13mergeSortPassPK15HIP_vector_typeIfLj4EEPS0_PKiiii: ; @_Z13mergeSortPassPK15HIP_vector_typeIfLj4EEPS0_PKiiii
; %bb.0:
	s_load_dwordx4 s[12:15], s[4:5], 0x18
	s_load_dword s0, s[4:5], 0x34
	s_waitcnt lgkmcnt(0)
	s_abs_i32 s1, s12
	v_cvt_f32_u32_e32 v1, s1
	s_sub_i32 s2, 0, s1
	s_and_b32 s0, s0, 0xffff
	s_mul_i32 s6, s6, s0
	v_rcp_iflag_f32_e32 v1, v1
	v_add_u32_e32 v3, s6, v0
	v_sub_u32_e32 v0, 0, v3
	v_max_i32_e32 v0, v3, v0
	v_mul_f32_e32 v1, 0x4f7ffffe, v1
	v_cvt_u32_f32_e32 v1, v1
	v_xor_b32_e32 v4, s12, v3
	v_ashrrev_i32_e32 v4, 31, v4
	s_movk_i32 s0, 0x400
	v_mul_lo_u32 v2, s2, v1
	v_mul_hi_u32 v2, v1, v2
	v_add_u32_e32 v1, v1, v2
	v_mul_hi_u32 v1, v0, v1
	v_mul_lo_u32 v2, v1, s1
	v_add_u32_e32 v5, 1, v1
	v_sub_u32_e32 v0, v0, v2
	v_cmp_le_u32_e32 vcc, s1, v0
	v_subrev_u32_e32 v2, s1, v0
	v_cndmask_b32_e32 v1, v1, v5, vcc
	v_cndmask_b32_e32 v0, v0, v2, vcc
	v_add_u32_e32 v2, 1, v1
	v_cmp_le_u32_e32 vcc, s1, v0
	v_cndmask_b32_e32 v0, v1, v2, vcc
	v_xor_b32_e32 v0, v0, v4
	v_sub_u32_e32 v0, v0, v4
	v_cmp_gt_i32_e32 vcc, s0, v0
	s_and_saveexec_b64 s[0:1], vcc
	s_cbranch_execz .LBB1_21
; %bb.1:
	s_load_dwordx2 s[0:1], s[4:5], 0x10
	v_ashrrev_i32_e32 v1, 31, v0
	v_lshlrev_b64 v[1:2], 2, v[0:1]
	v_mul_lo_u32 v0, v0, s12
	s_waitcnt lgkmcnt(0)
	v_mov_b32_e32 v4, s1
	v_add_co_u32_e32 v16, vcc, s0, v1
	v_addc_co_u32_e32 v17, vcc, v4, v2, vcc
	global_load_dwordx2 v[1:2], v[16:17], off
	v_sub_u32_e32 v0, v3, v0
	s_waitcnt vmcnt(0)
	v_mad_u64_u32 v[0:1], s[0:1], v0, s13, v[1:2]
	v_cmp_lt_i32_e32 vcc, v0, v2
	s_and_b64 exec, exec, vcc
	s_cbranch_execz .LBB1_21
; %bb.2:
	s_load_dwordx4 s[16:19], s[4:5], 0x0
	s_lshr_b32 s0, s13, 31
	s_add_i32 s0, s13, s0
	s_ashr_i32 s12, s0, 1
	v_ashrrev_i32_e32 v1, 31, v0
	v_add_u32_e32 v8, s12, v0
	v_lshlrev_b64 v[18:19], 4, v[0:1]
	v_cmp_ge_i32_e32 vcc, v8, v2
	s_and_saveexec_b64 s[0:1], vcc
	s_xor_b64 s[2:3], exec, s[0:1]
	s_cbranch_execz .LBB1_6
; %bb.3:
	s_waitcnt lgkmcnt(0)
	v_mov_b32_e32 v2, s19
	v_add_co_u32_e32 v1, vcc, s18, v18
	v_addc_co_u32_e32 v2, vcc, v2, v19, vcc
	s_mov_b32 s6, 0
	s_mov_b64 s[4:5], 0
	v_mov_b32_e32 v3, s17
.LBB1_4:                                ; =>This Inner Loop Header: Depth=1
	v_add_u32_e32 v4, s6, v0
	v_ashrrev_i32_e32 v5, 31, v4
	v_lshlrev_b64 v[4:5], 4, v[4:5]
	s_add_i32 s6, s6, 1
	v_add_co_u32_e32 v4, vcc, s16, v4
	v_addc_co_u32_e32 v5, vcc, v3, v5, vcc
	global_load_dwordx4 v[4:7], v[4:5], off
	s_waitcnt vmcnt(0)
	global_store_dwordx4 v[1:2], v[4:7], off
	global_load_dword v4, v[16:17], off offset:4
	v_add_co_u32_e32 v1, vcc, 16, v1
	v_addc_co_u32_e32 v2, vcc, 0, v2, vcc
	s_waitcnt vmcnt(0)
	v_sub_u32_e32 v4, v4, v0
	v_cmp_ge_i32_e64 s[0:1], s6, v4
	s_or_b64 s[4:5], s[0:1], s[4:5]
	s_andn2_b64 exec, exec, s[4:5]
	s_cbranch_execnz .LBB1_4
; %bb.5:
	s_or_b64 exec, exec, s[4:5]
                                        ; implicit-def: $vgpr18_vgpr19
                                        ; implicit-def: $vgpr16_vgpr17
                                        ; implicit-def: $vgpr8
.LBB1_6:
	s_andn2_saveexec_b64 s[0:1], s[2:3]
	s_cbranch_execz .LBB1_21
; %bb.7:
	s_waitcnt lgkmcnt(0)
	v_mov_b32_e32 v29, s17
	v_add_co_u32_e32 v9, vcc, s16, v18
	s_ashr_i32 s13, s12, 31
	v_addc_co_u32_e32 v10, vcc, v29, v19, vcc
	s_lshl_b64 s[0:1], s[12:13], 4
	v_mov_b32_e32 v0, s1
	v_add_co_u32_e32 v11, vcc, s0, v9
	v_addc_co_u32_e32 v12, vcc, v10, v0, vcc
	global_load_dwordx4 v[0:3], v[9:10], off
	global_load_dwordx4 v[4:7], v[11:12], off
	v_mov_b32_e32 v21, 0
	v_add_u32_e32 v30, 1, v8
	s_mov_b64 s[20:21], 0
	v_mov_b32_e32 v31, s19
	s_mov_b64 s[24:25], 0
	v_mov_b32_e32 v13, 0
	v_mov_b32_e32 v32, 0
	;; [unrolled: 1-line block ×3, first 2 shown]
                                        ; implicit-def: $sgpr22_sgpr23
.LBB1_8:                                ; =>This Loop Header: Depth=1
                                        ;     Child Loop BB1_10 Depth 2
	v_add_u32_e32 v24, v30, v32
	v_ashrrev_i32_e32 v25, 31, v24
	v_lshlrev_b64 v[8:9], 4, v[24:25]
	v_mov_b32_e32 v20, v13
	v_add_co_u32_e64 v25, s[0:1], s16, v8
	v_addc_co_u32_e64 v26, s[0:1], v29, v9, s[0:1]
	v_lshlrev_b64 v[8:9], 4, v[20:21]
	v_ashrrev_i32_e32 v23, 31, v22
	v_add_co_u32_e64 v34, s[2:3], s18, v8
	v_addc_co_u32_e64 v35, s[2:3], v31, v9, s[2:3]
	v_lshlrev_b64 v[8:9], 4, v[22:23]
	v_add_u32_e32 v33, 1, v32
	v_add_co_u32_e64 v23, s[2:3], s16, v8
	v_cmp_gt_i32_e32 vcc, s14, v24
	v_cmp_gt_i32_e64 s[0:1], s12, v33
	v_addc_co_u32_e64 v36, s[2:3], v29, v9, s[2:3]
	s_mov_b32 s13, 0
	s_mov_b64 s[28:29], 0
                                        ; implicit-def: $sgpr26_sgpr27
	s_branch .LBB1_10
.LBB1_9:                                ;   in Loop: Header=BB1_10 Depth=2
	s_or_b64 exec, exec, s[38:39]
	s_xor_b64 s[10:11], s[30:31], -1
	v_cndmask_b32_e64 v4, v4, v6, s[2:3]
	s_xor_b64 s[2:3], s[36:37], -1
	v_cndmask_b32_e64 v7, v5, v7, s[4:5]
	s_and_b64 s[4:5], exec, s[34:35]
	s_or_b64 s[28:29], s[4:5], s[28:29]
	s_andn2_b64 s[4:5], s[26:27], exec
	s_and_b64 s[2:3], s[2:3], exec
	s_or_b64 s[26:27], s[4:5], s[2:3]
	s_andn2_b64 s[2:3], s[22:23], exec
	s_and_b64 s[4:5], s[10:11], exec
	v_cndmask_b32_e64 v5, v38, v39, s[6:7]
	v_cndmask_b32_e64 v6, v38, v39, s[8:9]
	s_waitcnt vmcnt(1)
	v_mov_b32_e32 v14, s15
	v_mov_b32_e32 v12, s13
	s_or_b64 s[22:23], s[2:3], s[4:5]
	s_mov_b32 s13, s15
	s_andn2_b64 exec, exec, s[28:29]
	s_cbranch_execz .LBB1_16
.LBB1_10:                               ;   Parent Loop BB1_8 Depth=1
                                        ; =>  This Inner Loop Header: Depth=2
	v_add_co_u32_e64 v8, s[2:3], v23, v18
	v_addc_co_u32_e64 v9, s[2:3], v36, v19, s[2:3]
	global_load_dwordx4 v[12:15], v[8:9], off offset:16
	v_mov_b32_e32 v8, 0
	v_mov_b32_e32 v9, 0
	;; [unrolled: 1-line block ×4, first 2 shown]
	s_and_saveexec_b64 s[2:3], vcc
	s_cbranch_execz .LBB1_12
; %bb.11:                               ;   in Loop: Header=BB1_10 Depth=2
	global_load_dwordx4 v[8:11], v[25:26], off
.LBB1_12:                               ;   in Loop: Header=BB1_10 Depth=2
	s_or_b64 exec, exec, s[2:3]
	s_waitcnt vmcnt(1)
	v_cmp_lt_f32_e64 s[2:3], v0, v7
	v_cndmask_b32_e64 v27, v7, v0, s[2:3]
	v_cmp_lt_f32_e64 s[2:3], v1, v6
	v_cndmask_b32_e64 v28, v6, v1, s[2:3]
	;; [unrolled: 2-line block ×4, first 2 shown]
	v_cmp_gt_f32_e64 s[2:3], v27, v28
	v_cndmask_b32_e64 v39, v27, v28, s[2:3]
	v_cmp_gt_f32_e64 s[2:3], v28, v27
	v_cndmask_b32_e64 v27, v27, v28, s[2:3]
	;; [unrolled: 2-line block ×10, first 2 shown]
	v_add_co_u32_e64 v27, s[2:3], v34, v18
	v_addc_co_u32_e64 v28, s[2:3], v35, v19, s[2:3]
	s_mov_b64 s[30:31], 0
	global_store_dwordx4 v[27:28], v[37:40], off
	s_and_saveexec_b64 s[4:5], s[0:1]
	s_cbranch_execz .LBB1_14
; %bb.13:                               ;   in Loop: Header=BB1_10 Depth=2
	global_load_dword v37, v[16:17], off offset:4
	s_waitcnt vmcnt(0)
	v_cmp_lt_i32_e64 s[2:3], v24, v37
	s_and_b64 s[30:31], s[2:3], exec
.LBB1_14:                               ;   in Loop: Header=BB1_10 Depth=2
	s_or_b64 exec, exec, s[4:5]
	v_cmp_ge_f32_e64 s[2:3], v3, v4
	v_cndmask_b32_e64 v3, v4, v3, s[2:3]
	v_cmp_ge_f32_e64 s[2:3], v2, v5
	v_cndmask_b32_e64 v2, v5, v2, s[2:3]
	v_cmp_ge_f32_e64 s[2:3], v1, v6
	v_cndmask_b32_e64 v1, v6, v1, s[2:3]
	v_cmp_ge_f32_e64 s[2:3], v0, v7
	v_cndmask_b32_e64 v0, v7, v0, s[2:3]
	v_cmp_gt_f32_e64 s[2:3], v3, v2
	v_cndmask_b32_e64 v4, v3, v2, s[2:3]
	v_cmp_gt_f32_e64 s[2:3], v2, v3
	v_cndmask_b32_e64 v5, v3, v2, s[2:3]
	;; [unrolled: 2-line block ×4, first 2 shown]
	v_cmp_gt_f32_e64 s[4:5], v5, v7
	v_add_u32_e32 v37, s13, v22
	v_cndmask_b32_e64 v38, v5, v7, s[4:5]
	v_cmp_gt_f32_e64 s[4:5], v6, v4
	v_cndmask_b32_e64 v39, v4, v6, s[4:5]
	v_add_u32_e32 v0, 1, v37
	s_mov_b64 s[34:35], -1
	v_cmp_gt_f32_e64 s[2:3], v4, v6
	v_cmp_gt_f32_e64 s[4:5], v7, v5
	;; [unrolled: 1-line block ×4, first 2 shown]
	v_cmp_gt_i32_e64 s[10:11], s12, v0
	s_mov_b64 s[36:37], -1
                                        ; implicit-def: $vgpr0
                                        ; implicit-def: $sgpr15
	s_and_saveexec_b64 s[38:39], s[10:11]
	s_cbranch_execz .LBB1_9
; %bb.15:                               ;   in Loop: Header=BB1_10 Depth=2
	v_add_co_u32_e64 v34, s[10:11], 16, v34
	v_addc_co_u32_e64 v35, s[10:11], 0, v35, s[10:11]
	v_add_co_u32_e64 v23, s[10:11], 16, v23
	s_add_i32 s15, s13, 1
	v_addc_co_u32_e64 v36, s[10:11], 0, v36, s[10:11]
	s_xor_b64 s[36:37], exec, -1
	s_orn2_b64 s[34:35], s[30:31], exec
	s_waitcnt vmcnt(1)
	v_mov_b32_e32 v0, v12
	v_mov_b32_e32 v1, v13
	;; [unrolled: 1-line block ×4, first 2 shown]
	s_branch .LBB1_9
.LBB1_16:                               ;   in Loop: Header=BB1_8 Depth=1
	s_or_b64 exec, exec, s[28:29]
	s_mov_b64 s[0:1], -1
                                        ; implicit-def: $vgpr13
	s_and_saveexec_b64 s[2:3], s[26:27]
	s_xor_b64 s[2:3], exec, s[2:3]
	s_cbranch_execz .LBB1_18
; %bb.17:                               ;   in Loop: Header=BB1_8 Depth=1
	v_add_u32_e32 v13, v20, v14
	v_add_u32_e32 v14, v22, v14
	v_add_u32_e32 v15, -1, v14
	v_cmp_lt_f32_e32 vcc, v0, v8
	v_cndmask_b32_e32 v22, v15, v14, vcc
	v_cndmask_b32_e32 v32, v33, v32, vcc
	;; [unrolled: 1-line block ×6, first 2 shown]
	s_xor_b64 s[0:1], exec, -1
.LBB1_18:                               ;   in Loop: Header=BB1_8 Depth=1
	s_or_b64 exec, exec, s[2:3]
	s_and_b64 s[0:1], exec, s[0:1]
	s_or_b64 s[24:25], s[0:1], s[24:25]
	s_andn2_b64 exec, exec, s[24:25]
	s_cbranch_execnz .LBB1_8
; %bb.19:                               ;   in Loop: Header=BB1_8 Depth=1
	s_or_b64 exec, exec, s[24:25]
	s_and_b64 s[0:1], exec, s[22:23]
	v_add3_u32 v13, v20, v12, 1
	s_or_b64 s[20:21], s[0:1], s[20:21]
	s_mov_b64 s[24:25], 0
	v_mov_b32_e32 v0, v8
	v_mov_b32_e32 v1, v9
	;; [unrolled: 1-line block ×6, first 2 shown]
	s_andn2_b64 exec, exec, s[20:21]
	s_cbranch_execnz .LBB1_8
; %bb.20:
	s_or_b64 exec, exec, s[20:21]
	global_store_dwordx4 v[27:28], v[4:7], off offset:16
.LBB1_21:
	s_endpgm
	.section	.rodata,"a",@progbits
	.p2align	6, 0x0
	.amdhsa_kernel _Z13mergeSortPassPK15HIP_vector_typeIfLj4EEPS0_PKiiii
		.amdhsa_group_segment_fixed_size 0
		.amdhsa_private_segment_fixed_size 0
		.amdhsa_kernarg_size 296
		.amdhsa_user_sgpr_count 6
		.amdhsa_user_sgpr_private_segment_buffer 1
		.amdhsa_user_sgpr_dispatch_ptr 0
		.amdhsa_user_sgpr_queue_ptr 0
		.amdhsa_user_sgpr_kernarg_segment_ptr 1
		.amdhsa_user_sgpr_dispatch_id 0
		.amdhsa_user_sgpr_flat_scratch_init 0
		.amdhsa_user_sgpr_private_segment_size 0
		.amdhsa_uses_dynamic_stack 0
		.amdhsa_system_sgpr_private_segment_wavefront_offset 0
		.amdhsa_system_sgpr_workgroup_id_x 1
		.amdhsa_system_sgpr_workgroup_id_y 0
		.amdhsa_system_sgpr_workgroup_id_z 0
		.amdhsa_system_sgpr_workgroup_info 0
		.amdhsa_system_vgpr_workitem_id 0
		.amdhsa_next_free_vgpr 42
		.amdhsa_next_free_sgpr 40
		.amdhsa_reserve_vcc 1
		.amdhsa_reserve_flat_scratch 0
		.amdhsa_float_round_mode_32 0
		.amdhsa_float_round_mode_16_64 0
		.amdhsa_float_denorm_mode_32 3
		.amdhsa_float_denorm_mode_16_64 3
		.amdhsa_dx10_clamp 1
		.amdhsa_ieee_mode 1
		.amdhsa_fp16_overflow 0
		.amdhsa_exception_fp_ieee_invalid_op 0
		.amdhsa_exception_fp_denorm_src 0
		.amdhsa_exception_fp_ieee_div_zero 0
		.amdhsa_exception_fp_ieee_overflow 0
		.amdhsa_exception_fp_ieee_underflow 0
		.amdhsa_exception_fp_ieee_inexact 0
		.amdhsa_exception_int_div_zero 0
	.end_amdhsa_kernel
	.text
.Lfunc_end1:
	.size	_Z13mergeSortPassPK15HIP_vector_typeIfLj4EEPS0_PKiiii, .Lfunc_end1-_Z13mergeSortPassPK15HIP_vector_typeIfLj4EEPS0_PKiiii
                                        ; -- End function
	.set _Z13mergeSortPassPK15HIP_vector_typeIfLj4EEPS0_PKiiii.num_vgpr, 42
	.set _Z13mergeSortPassPK15HIP_vector_typeIfLj4EEPS0_PKiiii.num_agpr, 0
	.set _Z13mergeSortPassPK15HIP_vector_typeIfLj4EEPS0_PKiiii.numbered_sgpr, 40
	.set _Z13mergeSortPassPK15HIP_vector_typeIfLj4EEPS0_PKiiii.num_named_barrier, 0
	.set _Z13mergeSortPassPK15HIP_vector_typeIfLj4EEPS0_PKiiii.private_seg_size, 0
	.set _Z13mergeSortPassPK15HIP_vector_typeIfLj4EEPS0_PKiiii.uses_vcc, 1
	.set _Z13mergeSortPassPK15HIP_vector_typeIfLj4EEPS0_PKiiii.uses_flat_scratch, 0
	.set _Z13mergeSortPassPK15HIP_vector_typeIfLj4EEPS0_PKiiii.has_dyn_sized_stack, 0
	.set _Z13mergeSortPassPK15HIP_vector_typeIfLj4EEPS0_PKiiii.has_recursion, 0
	.set _Z13mergeSortPassPK15HIP_vector_typeIfLj4EEPS0_PKiiii.has_indirect_call, 0
	.section	.AMDGPU.csdata,"",@progbits
; Kernel info:
; codeLenInByte = 1540
; TotalNumSgprs: 44
; NumVgprs: 42
; ScratchSize: 0
; MemoryBound: 1
; FloatMode: 240
; IeeeMode: 1
; LDSByteSize: 0 bytes/workgroup (compile time only)
; SGPRBlocks: 5
; VGPRBlocks: 10
; NumSGPRsForWavesPerEU: 44
; NumVGPRsForWavesPerEU: 42
; Occupancy: 5
; WaveLimiterHint : 1
; COMPUTE_PGM_RSRC2:SCRATCH_EN: 0
; COMPUTE_PGM_RSRC2:USER_SGPR: 6
; COMPUTE_PGM_RSRC2:TRAP_HANDLER: 0
; COMPUTE_PGM_RSRC2:TGID_X_EN: 1
; COMPUTE_PGM_RSRC2:TGID_Y_EN: 0
; COMPUTE_PGM_RSRC2:TGID_Z_EN: 0
; COMPUTE_PGM_RSRC2:TIDIG_COMP_CNT: 0
	.text
	.protected	_Z9mergepackPfPKfPKiPKjS5_ ; -- Begin function _Z9mergepackPfPKfPKiPKjS5_
	.globl	_Z9mergepackPfPKfPKiPKjS5_
	.p2align	8
	.type	_Z9mergepackPfPKfPKiPKjS5_,@function
_Z9mergepackPfPKfPKiPKjS5_:             ; @_Z9mergepackPfPKfPKiPKjS5_
; %bb.0:
	s_load_dword s1, s[4:5], 0x34
	s_load_dwordx8 s[8:15], s[4:5], 0x0
	s_mov_b32 s0, s7
	s_waitcnt lgkmcnt(0)
	s_and_b32 s7, s1, 0xffff
	s_ashr_i32 s1, s0, 31
	s_lshl_b64 s[0:1], s[0:1], 2
	s_add_u32 s2, s14, s0
	s_addc_u32 s3, s15, s1
	s_load_dwordx2 s[14:15], s[2:3], 0x0
	s_mul_i32 s6, s6, s7
	v_add_u32_e32 v1, s6, v0
	s_waitcnt lgkmcnt(0)
	v_add_u32_e32 v0, s14, v1
	v_cmp_gt_u32_e32 vcc, s15, v0
	s_and_saveexec_b64 s[2:3], vcc
	s_cbranch_execz .LBB2_2
; %bb.1:
	s_add_u32 s2, s12, s0
	s_addc_u32 s3, s13, s1
	s_load_dword s12, s[2:3], 0x0
	s_load_dwordx2 s[6:7], s[4:5], 0x20
	v_mov_b32_e32 v2, 0
	v_mov_b32_e32 v5, s11
	s_waitcnt lgkmcnt(0)
	s_lshl_b32 s2, s12, 2
	s_add_u32 s0, s6, s0
	s_addc_u32 s1, s7, s1
	s_load_dword s0, s[0:1], 0x0
	s_waitcnt lgkmcnt(0)
	s_add_i32 s2, s2, s0
	v_add_u32_e32 v1, s2, v1
	v_lshlrev_b64 v[3:4], 2, v[1:2]
	v_mov_b32_e32 v1, v2
	v_add_co_u32_e32 v3, vcc, s10, v3
	v_addc_co_u32_e32 v4, vcc, v5, v4, vcc
	global_load_dword v3, v[3:4], off
	v_lshlrev_b64 v[0:1], 2, v[0:1]
	v_mov_b32_e32 v2, s9
	v_add_co_u32_e32 v0, vcc, s8, v0
	v_addc_co_u32_e32 v1, vcc, v2, v1, vcc
	s_waitcnt vmcnt(0)
	global_store_dword v[0:1], v3, off
.LBB2_2:
	s_endpgm
	.section	.rodata,"a",@progbits
	.p2align	6, 0x0
	.amdhsa_kernel _Z9mergepackPfPKfPKiPKjS5_
		.amdhsa_group_segment_fixed_size 0
		.amdhsa_private_segment_fixed_size 0
		.amdhsa_kernarg_size 296
		.amdhsa_user_sgpr_count 6
		.amdhsa_user_sgpr_private_segment_buffer 1
		.amdhsa_user_sgpr_dispatch_ptr 0
		.amdhsa_user_sgpr_queue_ptr 0
		.amdhsa_user_sgpr_kernarg_segment_ptr 1
		.amdhsa_user_sgpr_dispatch_id 0
		.amdhsa_user_sgpr_flat_scratch_init 0
		.amdhsa_user_sgpr_private_segment_size 0
		.amdhsa_uses_dynamic_stack 0
		.amdhsa_system_sgpr_private_segment_wavefront_offset 0
		.amdhsa_system_sgpr_workgroup_id_x 1
		.amdhsa_system_sgpr_workgroup_id_y 1
		.amdhsa_system_sgpr_workgroup_id_z 0
		.amdhsa_system_sgpr_workgroup_info 0
		.amdhsa_system_vgpr_workitem_id 0
		.amdhsa_next_free_vgpr 6
		.amdhsa_next_free_sgpr 16
		.amdhsa_reserve_vcc 1
		.amdhsa_reserve_flat_scratch 0
		.amdhsa_float_round_mode_32 0
		.amdhsa_float_round_mode_16_64 0
		.amdhsa_float_denorm_mode_32 3
		.amdhsa_float_denorm_mode_16_64 3
		.amdhsa_dx10_clamp 1
		.amdhsa_ieee_mode 1
		.amdhsa_fp16_overflow 0
		.amdhsa_exception_fp_ieee_invalid_op 0
		.amdhsa_exception_fp_denorm_src 0
		.amdhsa_exception_fp_ieee_div_zero 0
		.amdhsa_exception_fp_ieee_overflow 0
		.amdhsa_exception_fp_ieee_underflow 0
		.amdhsa_exception_fp_ieee_inexact 0
		.amdhsa_exception_int_div_zero 0
	.end_amdhsa_kernel
	.text
.Lfunc_end2:
	.size	_Z9mergepackPfPKfPKiPKjS5_, .Lfunc_end2-_Z9mergepackPfPKfPKiPKjS5_
                                        ; -- End function
	.set _Z9mergepackPfPKfPKiPKjS5_.num_vgpr, 6
	.set _Z9mergepackPfPKfPKiPKjS5_.num_agpr, 0
	.set _Z9mergepackPfPKfPKiPKjS5_.numbered_sgpr, 16
	.set _Z9mergepackPfPKfPKiPKjS5_.num_named_barrier, 0
	.set _Z9mergepackPfPKfPKiPKjS5_.private_seg_size, 0
	.set _Z9mergepackPfPKfPKiPKjS5_.uses_vcc, 1
	.set _Z9mergepackPfPKfPKiPKjS5_.uses_flat_scratch, 0
	.set _Z9mergepackPfPKfPKiPKjS5_.has_dyn_sized_stack, 0
	.set _Z9mergepackPfPKfPKiPKjS5_.has_recursion, 0
	.set _Z9mergepackPfPKfPKiPKjS5_.has_indirect_call, 0
	.section	.AMDGPU.csdata,"",@progbits
; Kernel info:
; codeLenInByte = 216
; TotalNumSgprs: 20
; NumVgprs: 6
; ScratchSize: 0
; MemoryBound: 0
; FloatMode: 240
; IeeeMode: 1
; LDSByteSize: 0 bytes/workgroup (compile time only)
; SGPRBlocks: 2
; VGPRBlocks: 1
; NumSGPRsForWavesPerEU: 20
; NumVGPRsForWavesPerEU: 6
; Occupancy: 10
; WaveLimiterHint : 1
; COMPUTE_PGM_RSRC2:SCRATCH_EN: 0
; COMPUTE_PGM_RSRC2:USER_SGPR: 6
; COMPUTE_PGM_RSRC2:TRAP_HANDLER: 0
; COMPUTE_PGM_RSRC2:TGID_X_EN: 1
; COMPUTE_PGM_RSRC2:TGID_Y_EN: 1
; COMPUTE_PGM_RSRC2:TGID_Z_EN: 0
; COMPUTE_PGM_RSRC2:TIDIG_COMP_CNT: 0
	.section	.AMDGPU.gpr_maximums,"",@progbits
	.set amdgpu.max_num_vgpr, 0
	.set amdgpu.max_num_agpr, 0
	.set amdgpu.max_num_sgpr, 0
	.section	.AMDGPU.csdata,"",@progbits
	.type	__hip_cuid_dbaa69877d76fd02,@object ; @__hip_cuid_dbaa69877d76fd02
	.section	.bss,"aw",@nobits
	.globl	__hip_cuid_dbaa69877d76fd02
__hip_cuid_dbaa69877d76fd02:
	.byte	0                               ; 0x0
	.size	__hip_cuid_dbaa69877d76fd02, 1

	.ident	"AMD clang version 22.0.0git (https://github.com/RadeonOpenCompute/llvm-project roc-7.2.4 26084 f58b06dce1f9c15707c5f808fd002e18c2accf7e)"
	.section	".note.GNU-stack","",@progbits
	.addrsig
	.addrsig_sym __hip_cuid_dbaa69877d76fd02
	.amdgpu_metadata
---
amdhsa.kernels:
  - .args:
      - .address_space:  global
        .offset:         0
        .size:           8
        .value_kind:     global_buffer
      - .address_space:  global
        .offset:         8
        .size:           8
        .value_kind:     global_buffer
      - .offset:         16
        .size:           4
        .value_kind:     by_value
      - .offset:         24
        .size:           4
        .value_kind:     hidden_block_count_x
      - .offset:         28
        .size:           4
        .value_kind:     hidden_block_count_y
      - .offset:         32
        .size:           4
        .value_kind:     hidden_block_count_z
      - .offset:         36
        .size:           2
        .value_kind:     hidden_group_size_x
      - .offset:         38
        .size:           2
        .value_kind:     hidden_group_size_y
      - .offset:         40
        .size:           2
        .value_kind:     hidden_group_size_z
      - .offset:         42
        .size:           2
        .value_kind:     hidden_remainder_x
      - .offset:         44
        .size:           2
        .value_kind:     hidden_remainder_y
      - .offset:         46
        .size:           2
        .value_kind:     hidden_remainder_z
      - .offset:         64
        .size:           8
        .value_kind:     hidden_global_offset_x
      - .offset:         72
        .size:           8
        .value_kind:     hidden_global_offset_y
      - .offset:         80
        .size:           8
        .value_kind:     hidden_global_offset_z
      - .offset:         88
        .size:           2
        .value_kind:     hidden_grid_dims
    .group_segment_fixed_size: 0
    .kernarg_segment_align: 8
    .kernarg_segment_size: 280
    .language:       OpenCL C
    .language_version:
      - 2
      - 0
    .max_flat_workgroup_size: 1024
    .name:           _Z11sortElementP15HIP_vector_typeIfLj4EES1_i
    .private_segment_fixed_size: 0
    .sgpr_count:     11
    .sgpr_spill_count: 0
    .symbol:         _Z11sortElementP15HIP_vector_typeIfLj4EES1_i.kd
    .uniform_work_group_size: 1
    .uses_dynamic_stack: false
    .vgpr_count:     10
    .vgpr_spill_count: 0
    .wavefront_size: 64
  - .args:
      - .address_space:  global
        .offset:         0
        .size:           8
        .value_kind:     global_buffer
      - .address_space:  global
        .offset:         8
        .size:           8
        .value_kind:     global_buffer
      - .address_space:  global
        .offset:         16
        .size:           8
        .value_kind:     global_buffer
      - .offset:         24
        .size:           4
        .value_kind:     by_value
      - .offset:         28
        .size:           4
        .value_kind:     by_value
      - .offset:         32
        .size:           4
        .value_kind:     by_value
      - .offset:         40
        .size:           4
        .value_kind:     hidden_block_count_x
      - .offset:         44
        .size:           4
        .value_kind:     hidden_block_count_y
      - .offset:         48
        .size:           4
        .value_kind:     hidden_block_count_z
      - .offset:         52
        .size:           2
        .value_kind:     hidden_group_size_x
      - .offset:         54
        .size:           2
        .value_kind:     hidden_group_size_y
      - .offset:         56
        .size:           2
        .value_kind:     hidden_group_size_z
      - .offset:         58
        .size:           2
        .value_kind:     hidden_remainder_x
      - .offset:         60
        .size:           2
        .value_kind:     hidden_remainder_y
      - .offset:         62
        .size:           2
        .value_kind:     hidden_remainder_z
      - .offset:         80
        .size:           8
        .value_kind:     hidden_global_offset_x
      - .offset:         88
        .size:           8
        .value_kind:     hidden_global_offset_y
      - .offset:         96
        .size:           8
        .value_kind:     hidden_global_offset_z
      - .offset:         104
        .size:           2
        .value_kind:     hidden_grid_dims
    .group_segment_fixed_size: 0
    .kernarg_segment_align: 8
    .kernarg_segment_size: 296
    .language:       OpenCL C
    .language_version:
      - 2
      - 0
    .max_flat_workgroup_size: 1024
    .name:           _Z13mergeSortPassPK15HIP_vector_typeIfLj4EEPS0_PKiiii
    .private_segment_fixed_size: 0
    .sgpr_count:     44
    .sgpr_spill_count: 0
    .symbol:         _Z13mergeSortPassPK15HIP_vector_typeIfLj4EEPS0_PKiiii.kd
    .uniform_work_group_size: 1
    .uses_dynamic_stack: false
    .vgpr_count:     42
    .vgpr_spill_count: 0
    .wavefront_size: 64
  - .args:
      - .address_space:  global
        .offset:         0
        .size:           8
        .value_kind:     global_buffer
      - .address_space:  global
        .offset:         8
        .size:           8
        .value_kind:     global_buffer
      - .address_space:  global
        .offset:         16
        .size:           8
        .value_kind:     global_buffer
      - .address_space:  global
        .offset:         24
        .size:           8
        .value_kind:     global_buffer
      - .address_space:  global
        .offset:         32
        .size:           8
        .value_kind:     global_buffer
      - .offset:         40
        .size:           4
        .value_kind:     hidden_block_count_x
      - .offset:         44
        .size:           4
        .value_kind:     hidden_block_count_y
      - .offset:         48
        .size:           4
        .value_kind:     hidden_block_count_z
      - .offset:         52
        .size:           2
        .value_kind:     hidden_group_size_x
      - .offset:         54
        .size:           2
        .value_kind:     hidden_group_size_y
      - .offset:         56
        .size:           2
        .value_kind:     hidden_group_size_z
      - .offset:         58
        .size:           2
        .value_kind:     hidden_remainder_x
      - .offset:         60
        .size:           2
        .value_kind:     hidden_remainder_y
      - .offset:         62
        .size:           2
        .value_kind:     hidden_remainder_z
      - .offset:         80
        .size:           8
        .value_kind:     hidden_global_offset_x
      - .offset:         88
        .size:           8
        .value_kind:     hidden_global_offset_y
      - .offset:         96
        .size:           8
        .value_kind:     hidden_global_offset_z
      - .offset:         104
        .size:           2
        .value_kind:     hidden_grid_dims
    .group_segment_fixed_size: 0
    .kernarg_segment_align: 8
    .kernarg_segment_size: 296
    .language:       OpenCL C
    .language_version:
      - 2
      - 0
    .max_flat_workgroup_size: 1024
    .name:           _Z9mergepackPfPKfPKiPKjS5_
    .private_segment_fixed_size: 0
    .sgpr_count:     20
    .sgpr_spill_count: 0
    .symbol:         _Z9mergepackPfPKfPKiPKjS5_.kd
    .uniform_work_group_size: 1
    .uses_dynamic_stack: false
    .vgpr_count:     6
    .vgpr_spill_count: 0
    .wavefront_size: 64
amdhsa.target:   amdgcn-amd-amdhsa--gfx906
amdhsa.version:
  - 1
  - 2
...

	.end_amdgpu_metadata
